;; amdgpu-corpus repo=ROCm/rocFFT kind=compiled arch=gfx1030 opt=O3
	.text
	.amdgcn_target "amdgcn-amd-amdhsa--gfx1030"
	.amdhsa_code_object_version 6
	.protected	bluestein_single_back_len2048_dim1_dp_op_CI_CI ; -- Begin function bluestein_single_back_len2048_dim1_dp_op_CI_CI
	.globl	bluestein_single_back_len2048_dim1_dp_op_CI_CI
	.p2align	8
	.type	bluestein_single_back_len2048_dim1_dp_op_CI_CI,@function
bluestein_single_back_len2048_dim1_dp_op_CI_CI: ; @bluestein_single_back_len2048_dim1_dp_op_CI_CI
; %bb.0:
	s_load_dwordx4 s[0:3], s[4:5], 0x28
	s_mov_b32 s7, 0
	s_waitcnt lgkmcnt(0)
	v_cmp_lt_u64_e64 s0, s[6:7], s[0:1]
	s_and_saveexec_b32 s1, s0
	s_cbranch_execz .LBB0_23
; %bb.1:
	s_clause 0x1
	s_load_dwordx2 s[14:15], s[4:5], 0x0
	s_load_dwordx2 s[12:13], s[4:5], 0x38
	v_mov_b32_e32 v162, s7
	v_mov_b32_e32 v161, s6
	v_cmp_gt_u32_e32 vcc_lo, 0x80, v0
	v_lshlrev_b32_e32 v170, 4, v0
	v_or_b32_e32 v162, 0x80, v0
	v_or_b32_e32 v163, 0x180, v0
	;; [unrolled: 1-line block ×8, first 2 shown]
	s_and_saveexec_b32 s1, vcc_lo
	s_cbranch_execz .LBB0_3
; %bb.2:
	s_load_dwordx2 s[6:7], s[4:5], 0x18
	v_or_b32_e32 v46, 0x1000, v170
	v_or_b32_e32 v55, 0x3000, v170
	v_lshlrev_b32_e32 v34, 4, v164
	v_lshlrev_b32_e32 v1, 4, v162
	;; [unrolled: 1-line block ×4, first 2 shown]
	v_or_b32_e32 v57, 0x4000, v170
	v_lshlrev_b32_e32 v63, 4, v167
	v_lshlrev_b32_e32 v38, 4, v166
	v_or_b32_e32 v49, 0x2000, v170
	v_lshlrev_b32_e32 v69, 4, v169
	s_waitcnt lgkmcnt(0)
	s_clause 0x1
	global_load_dwordx4 v[1:4], v1, s[14:15]
	global_load_dwordx4 v[5:8], v5, s[14:15]
	v_lshlrev_b32_e32 v78, 4, v168
	v_or_b32_e32 v105, 0x5000, v170
	v_or_b32_e32 v113, 0x6000, v170
	;; [unrolled: 1-line block ×3, first 2 shown]
	s_load_dwordx4 s[8:11], s[6:7], 0x0
	s_waitcnt lgkmcnt(0)
	v_mad_u64_u32 v[13:14], null, s10, v161, 0
	v_mad_u64_u32 v[15:16], null, s8, v0, 0
	;; [unrolled: 1-line block ×6, first 2 shown]
	v_mov_b32_e32 v9, v14
	v_mov_b32_e32 v10, v16
	v_mad_u64_u32 v[61:62], null, s8, v167, 0
	v_mad_u64_u32 v[23:24], null, s8, v165, 0
	v_mov_b32_e32 v11, v18
	v_mov_b32_e32 v18, v26
	v_mad_u64_u32 v[26:27], null, s11, v161, v[9:10]
	v_mov_b32_e32 v12, v20
	v_mov_b32_e32 v14, v22
	v_mad_u64_u32 v[27:28], null, s9, v0, v[10:11]
	v_mov_b32_e32 v45, v62
	v_mad_u64_u32 v[28:29], null, s9, v162, v[11:12]
	v_mad_u64_u32 v[29:30], null, s9, v163, v[12:13]
	v_mov_b32_e32 v16, v24
	v_mad_u64_u32 v[30:31], null, s9, v164, v[14:15]
	v_mov_b32_e32 v14, v26
	v_mad_u64_u32 v[73:74], null, s8, v168, 0
	v_mad_u64_u32 v[53:54], null, s9, v167, v[45:46]
	;; [unrolled: 1-line block ×3, first 2 shown]
	v_mov_b32_e32 v16, v27
	v_lshlrev_b64 v[13:14], 4, v[13:14]
	v_mad_u64_u32 v[32:33], null, s9, v166, v[18:19]
	v_mov_b32_e32 v18, v28
	v_mad_u64_u32 v[83:84], null, s8, v169, 0
	v_lshlrev_b64 v[15:16], 4, v[15:16]
	v_mov_b32_e32 v54, v74
	v_mov_b32_e32 v62, v53
	;; [unrolled: 1-line block ×3, first 2 shown]
	v_add_co_u32 v87, s0, s2, v13
	v_lshlrev_b64 v[17:18], 4, v[17:18]
	v_add_co_ci_u32_e64 v88, s0, s3, v14, s0
	v_mov_b32_e32 v22, v30
	v_mad_u64_u32 v[65:66], null, s9, v168, v[54:55]
	v_lshlrev_b64 v[67:68], 4, v[61:62]
	v_lshlrev_b64 v[19:20], 4, v[19:20]
	v_add_co_u32 v81, s0, v87, v15
	v_mov_b32_e32 v66, v84
	v_mov_b32_e32 v24, v31
	v_add_co_ci_u32_e64 v82, s0, v88, v16, s0
	v_lshlrev_b64 v[21:22], 4, v[21:22]
	v_add_co_u32 v17, s0, v87, v17
	v_mov_b32_e32 v26, v32
	v_add_co_ci_u32_e64 v18, s0, v88, v18, s0
	v_mad_u64_u32 v[75:76], null, s9, v169, v[66:67]
	v_lshlrev_b64 v[29:30], 4, v[23:24]
	v_add_co_u32 v23, s0, v87, v19
	v_add_co_ci_u32_e64 v24, s0, v88, v20, s0
	global_load_dwordx4 v[9:12], v34, s[14:15]
	v_add_co_u32 v27, s0, v87, v21
	v_lshlrev_b64 v[33:34], 4, v[25:26]
	v_mov_b32_e32 v74, v65
	v_add_co_ci_u32_e64 v28, s0, v88, v22, s0
	v_add_co_u32 v35, s0, v87, v29
	v_mov_b32_e32 v84, v75
	v_add_co_ci_u32_e64 v36, s0, v88, v30, s0
	v_add_co_u32 v41, s0, v87, v33
	v_lshlrev_b64 v[85:86], 4, v[73:74]
	v_add_co_ci_u32_e64 v42, s0, v88, v34, s0
	v_add_co_u32 v76, s0, v87, v67
	v_lshlrev_b64 v[83:84], 4, v[83:84]
	v_add_co_ci_u32_e64 v77, s0, v88, v68, s0
	v_add_co_u32 v85, s0, v87, v85
	v_add_co_ci_u32_e64 v86, s0, v88, v86, s0
	v_add_co_u32 v87, s0, v87, v83
	s_lshl_b64 s[2:3], s[8:9], 12
	v_add_co_ci_u32_e64 v88, s0, v88, v84, s0
	v_add_co_u32 v89, s0, v81, s2
	v_add_co_ci_u32_e64 v90, s0, s3, v82, s0
	s_clause 0x3
	global_load_dwordx4 v[13:16], v[81:82], off
	global_load_dwordx4 v[17:20], v[17:18], off
	;; [unrolled: 1-line block ×4, first 2 shown]
	v_add_co_u32 v93, s0, v89, s2
	v_add_co_ci_u32_e64 v94, s0, s3, v90, s0
	global_load_dwordx4 v[29:32], v37, s[14:15]
	global_load_dwordx4 v[33:36], v[35:36], off
	global_load_dwordx4 v[37:40], v38, s[14:15]
	global_load_dwordx4 v[41:44], v[41:42], off
	s_clause 0x6
	global_load_dwordx4 v[45:48], v46, s[14:15]
	global_load_dwordx4 v[49:52], v49, s[14:15]
	;; [unrolled: 1-line block ×7, first 2 shown]
	v_add_co_u32 v97, s0, v93, s2
	v_add_co_ci_u32_e64 v98, s0, s3, v94, s0
	global_load_dwordx4 v[73:76], v[76:77], off
	global_load_dwordx4 v[77:80], v78, s[14:15]
	v_add_co_u32 v101, s0, v97, s2
	v_add_co_ci_u32_e64 v102, s0, s3, v98, s0
	s_clause 0x1
	global_load_dwordx4 v[81:84], v[85:86], off
	global_load_dwordx4 v[85:88], v[87:88], off
	v_add_co_u32 v109, s0, v101, s2
	v_add_co_ci_u32_e64 v110, s0, s3, v102, s0
	s_clause 0x1
	global_load_dwordx4 v[89:92], v[89:90], off
	global_load_dwordx4 v[93:96], v[93:94], off
	;; [unrolled: 5-line block ×3, first 2 shown]
	v_add_co_u32 v125, s0, v117, s2
	global_load_dwordx4 v[105:108], v105, s[14:15]
	v_add_co_ci_u32_e64 v126, s0, s3, v118, s0
	global_load_dwordx4 v[109:112], v[109:110], off
	global_load_dwordx4 v[113:116], v113, s[14:15]
	global_load_dwordx4 v[117:120], v[117:118], off
	global_load_dwordx4 v[121:124], v121, s[14:15]
	global_load_dwordx4 v[125:128], v[125:126], off
	s_waitcnt vmcnt(27)
	v_mul_f64 v[131:132], v[19:20], v[3:4]
	v_mul_f64 v[3:4], v[17:18], v[3:4]
	s_waitcnt vmcnt(26)
	v_mul_f64 v[133:134], v[23:24], v[7:8]
	v_mul_f64 v[7:8], v[21:22], v[7:8]
	;; [unrolled: 3-line block ×13, first 2 shown]
	v_fma_f64 v[11:12], v[13:14], v[65:66], v[129:130]
	v_fma_f64 v[13:14], v[15:16], v[65:66], -v[67:68]
	v_fma_f64 v[15:16], v[17:18], v[1:2], v[131:132]
	v_fma_f64 v[17:18], v[19:20], v[1:2], -v[3:4]
	;; [unrolled: 2-line block ×4, first 2 shown]
	s_waitcnt vmcnt(4)
	v_mul_f64 v[9:10], v[111:112], v[107:108]
	v_mul_f64 v[65:66], v[109:110], v[107:108]
	s_waitcnt vmcnt(2)
	v_mul_f64 v[67:68], v[119:120], v[115:116]
	v_mul_f64 v[107:108], v[117:118], v[115:116]
	;; [unrolled: 3-line block ×3, first 2 shown]
	v_fma_f64 v[19:20], v[33:34], v[29:30], v[139:140]
	v_fma_f64 v[21:22], v[35:36], v[29:30], -v[31:32]
	v_fma_f64 v[23:24], v[41:42], v[37:38], v[141:142]
	v_fma_f64 v[25:26], v[43:44], v[37:38], -v[39:40]
	;; [unrolled: 2-line block ×12, first 2 shown]
	ds_write_b128 v170, v[11:14]
	ds_write_b128 v170, v[15:18] offset:2048
	ds_write_b128 v170, v[1:4] offset:6144
	;; [unrolled: 1-line block ×15, first 2 shown]
.LBB0_3:
	s_or_b32 exec_lo, exec_lo, s1
	s_waitcnt lgkmcnt(0)
	s_barrier
	buffer_gl0_inv
                                        ; implicit-def: $vgpr1_vgpr2
                                        ; implicit-def: $vgpr29_vgpr30
                                        ; implicit-def: $vgpr45_vgpr46
                                        ; implicit-def: $vgpr57_vgpr58
                                        ; implicit-def: $vgpr53_vgpr54
                                        ; implicit-def: $vgpr61_vgpr62
                                        ; implicit-def: $vgpr49_vgpr50
                                        ; implicit-def: $vgpr41_vgpr42
                                        ; implicit-def: $vgpr33_vgpr34
                                        ; implicit-def: $vgpr37_vgpr38
                                        ; implicit-def: $vgpr21_vgpr22
                                        ; implicit-def: $vgpr13_vgpr14
                                        ; implicit-def: $vgpr25_vgpr26
                                        ; implicit-def: $vgpr9_vgpr10
                                        ; implicit-def: $vgpr17_vgpr18
                                        ; implicit-def: $vgpr5_vgpr6
	s_and_saveexec_b32 s0, vcc_lo
	s_cbranch_execz .LBB0_5
; %bb.4:
	v_or_b32_e32 v37, 0x3800, v170
	v_or_b32_e32 v45, 0x7800, v170
	ds_read_b128 v[1:4], v170
	ds_read_b128 v[5:8], v170 offset:2048
	ds_read_b128 v[17:20], v170 offset:4096
	ds_read_b128 v[9:12], v170 offset:6144
	ds_read_b128 v[25:28], v170 offset:8192
	ds_read_b128 v[13:16], v170 offset:10240
	ds_read_b128 v[21:24], v170 offset:12288
	ds_read_b128 v[33:36], v170 offset:16384
	ds_read_b128 v[29:32], v170 offset:18432
	ds_read_b128 v[41:44], v170 offset:20480
	ds_read_b128 v[49:52], v170 offset:22528
	ds_read_b128 v[61:64], v170 offset:24576
	ds_read_b128 v[53:56], v170 offset:26624
	ds_read_b128 v[57:60], v170 offset:28672
	ds_read_b128 v[37:40], v37
	ds_read_b128 v[45:48], v45
.LBB0_5:
	s_or_b32 exec_lo, exec_lo, s0
	s_waitcnt lgkmcnt(8)
	v_add_f64 v[33:34], v[1:2], -v[33:34]
	v_add_f64 v[35:36], v[3:4], -v[35:36]
	s_waitcnt lgkmcnt(4)
	v_add_f64 v[61:62], v[25:26], -v[61:62]
	v_add_f64 v[63:64], v[27:28], -v[63:64]
	;; [unrolled: 1-line block ×4, first 2 shown]
	s_waitcnt lgkmcnt(2)
	v_add_f64 v[57:58], v[21:22], -v[57:58]
	v_add_f64 v[59:60], v[23:24], -v[59:60]
	;; [unrolled: 1-line block ×8, first 2 shown]
	s_waitcnt lgkmcnt(0)
	v_add_f64 v[47:48], v[39:40], -v[47:48]
	v_add_f64 v[45:46], v[37:38], -v[45:46]
	s_mov_b32 s0, 0x667f3bcd
	s_mov_b32 s1, 0xbfe6a09e
	;; [unrolled: 1-line block ×6, first 2 shown]
	v_fma_f64 v[1:2], v[1:2], 2.0, -v[33:34]
	v_fma_f64 v[3:4], v[3:4], 2.0, -v[35:36]
	v_fma_f64 v[25:26], v[25:26], 2.0, -v[61:62]
	v_fma_f64 v[27:28], v[27:28], 2.0, -v[63:64]
	v_add_f64 v[63:64], v[33:34], -v[63:64]
	v_add_f64 v[61:62], v[35:36], v[61:62]
	v_fma_f64 v[21:22], v[21:22], 2.0, -v[57:58]
	v_add_f64 v[65:66], v[41:42], -v[59:60]
	v_add_f64 v[57:58], v[57:58], v[43:44]
	v_fma_f64 v[17:18], v[17:18], 2.0, -v[41:42]
	v_add_f64 v[69:70], v[53:54], v[31:32]
	v_add_f64 v[67:68], v[29:30], -v[55:56]
	v_fma_f64 v[19:20], v[19:20], 2.0, -v[43:44]
	v_fma_f64 v[23:24], v[23:24], 2.0, -v[59:60]
	v_add_f64 v[71:72], v[49:50], -v[47:48]
	v_add_f64 v[73:74], v[45:46], v[51:52]
	v_fma_f64 v[5:6], v[5:6], 2.0, -v[29:30]
	v_fma_f64 v[7:8], v[7:8], 2.0, -v[31:32]
	;; [unrolled: 1-line block ×8, first 2 shown]
	v_add_f64 v[25:26], v[1:2], -v[25:26]
	v_add_f64 v[27:28], v[3:4], -v[27:28]
	v_fma_f64 v[33:34], v[33:34], 2.0, -v[63:64]
	v_fma_f64 v[35:36], v[35:36], 2.0, -v[61:62]
	s_mov_b32 s7, 0xbfed906b
	v_fma_f64 v[41:42], v[41:42], 2.0, -v[65:66]
	v_fma_f64 v[43:44], v[43:44], 2.0, -v[57:58]
	v_add_f64 v[21:22], v[17:18], -v[21:22]
	v_fma_f64 v[31:32], v[31:32], 2.0, -v[69:70]
	v_fma_f64 v[29:30], v[29:30], 2.0, -v[67:68]
	s_mov_b32 s9, 0xbfd87de2
	v_add_f64 v[23:24], v[19:20], -v[23:24]
	v_fma_f64 v[45:46], v[49:50], 2.0, -v[71:72]
	v_fma_f64 v[47:48], v[51:52], 2.0, -v[73:74]
	v_fma_f64 v[49:50], v[65:66], s[2:3], v[63:64]
	v_fma_f64 v[51:52], v[57:58], s[2:3], v[61:62]
	v_add_f64 v[13:14], v[5:6], -v[13:14]
	v_add_f64 v[15:16], v[7:8], -v[15:16]
	v_fma_f64 v[53:54], v[71:72], s[2:3], v[67:68]
	v_fma_f64 v[55:56], v[73:74], s[2:3], v[69:70]
	v_add_f64 v[37:38], v[9:10], -v[37:38]
	v_add_f64 v[39:40], v[11:12], -v[39:40]
	v_fma_f64 v[1:2], v[1:2], 2.0, -v[25:26]
	v_fma_f64 v[3:4], v[3:4], 2.0, -v[27:28]
	s_mov_b32 s11, 0x3fd87de2
	s_mov_b32 s17, 0x3fed906b
	;; [unrolled: 1-line block ×3, first 2 shown]
	v_fma_f64 v[59:60], v[41:42], s[0:1], v[33:34]
	v_fma_f64 v[75:76], v[43:44], s[0:1], v[35:36]
	v_fma_f64 v[17:18], v[17:18], 2.0, -v[21:22]
	v_add_f64 v[21:22], v[27:28], v[21:22]
	s_mov_b32 s16, s6
	v_lshlrev_b32_e32 v173, 8, v0
	v_fma_f64 v[19:20], v[19:20], 2.0, -v[23:24]
	v_fma_f64 v[77:78], v[45:46], s[0:1], v[29:30]
	v_fma_f64 v[79:80], v[47:48], s[0:1], v[31:32]
	v_add_f64 v[23:24], v[25:26], -v[23:24]
	v_fma_f64 v[49:50], v[57:58], s[0:1], v[49:50]
	v_fma_f64 v[5:6], v[5:6], 2.0, -v[13:14]
	v_fma_f64 v[7:8], v[7:8], 2.0, -v[15:16]
	v_fma_f64 v[51:52], v[65:66], s[2:3], v[51:52]
	v_fma_f64 v[53:54], v[73:74], s[0:1], v[53:54]
	v_fma_f64 v[9:10], v[9:10], 2.0, -v[37:38]
	v_fma_f64 v[11:12], v[11:12], 2.0, -v[39:40]
	v_add_f64 v[39:40], v[13:14], -v[39:40]
	v_add_f64 v[37:38], v[37:38], v[15:16]
	v_fma_f64 v[55:56], v[71:72], s[2:3], v[55:56]
	s_barrier
	v_fma_f64 v[43:44], v[43:44], s[0:1], v[59:60]
	v_fma_f64 v[41:42], v[41:42], s[2:3], v[75:76]
	v_add_f64 v[17:18], v[1:2], -v[17:18]
	v_fma_f64 v[27:28], v[27:28], 2.0, -v[21:22]
	buffer_gl0_inv
	v_add_f64 v[19:20], v[3:4], -v[19:20]
	v_fma_f64 v[47:48], v[47:48], s[0:1], v[77:78]
	v_fma_f64 v[45:46], v[45:46], s[2:3], v[79:80]
	v_fma_f64 v[25:26], v[25:26], 2.0, -v[23:24]
	v_fma_f64 v[57:58], v[63:64], 2.0, -v[49:50]
	;; [unrolled: 1-line block ×4, first 2 shown]
	v_add_f64 v[9:10], v[5:6], -v[9:10]
	v_add_f64 v[11:12], v[7:8], -v[11:12]
	v_fma_f64 v[13:14], v[13:14], 2.0, -v[39:40]
	v_fma_f64 v[15:16], v[15:16], 2.0, -v[37:38]
	;; [unrolled: 1-line block ×3, first 2 shown]
	v_fma_f64 v[65:66], v[39:40], s[2:3], v[23:24]
	v_fma_f64 v[67:68], v[37:38], s[2:3], v[21:22]
	v_fma_f64 v[33:34], v[33:34], 2.0, -v[43:44]
	v_fma_f64 v[35:36], v[35:36], 2.0, -v[41:42]
	v_fma_f64 v[69:70], v[53:54], s[16:17], v[49:50]
	v_fma_f64 v[1:2], v[1:2], 2.0, -v[17:18]
	v_fma_f64 v[91:92], v[55:56], s[16:17], v[51:52]
	v_fma_f64 v[3:4], v[3:4], 2.0, -v[19:20]
	v_fma_f64 v[29:30], v[29:30], 2.0, -v[47:48]
	;; [unrolled: 1-line block ×3, first 2 shown]
	v_fma_f64 v[79:80], v[47:48], s[10:11], v[43:44]
	v_fma_f64 v[81:82], v[45:46], s[10:11], v[41:42]
	;; [unrolled: 1-line block ×3, first 2 shown]
	v_fma_f64 v[5:6], v[5:6], 2.0, -v[9:10]
	v_fma_f64 v[7:8], v[7:8], 2.0, -v[11:12]
	v_fma_f64 v[71:72], v[13:14], s[0:1], v[25:26]
	v_fma_f64 v[73:74], v[15:16], s[0:1], v[27:28]
	;; [unrolled: 1-line block ×3, first 2 shown]
	v_add_f64 v[113:114], v[17:18], -v[11:12]
	v_add_f64 v[115:116], v[19:20], v[9:10]
	v_fma_f64 v[109:110], v[37:38], s[0:1], v[65:66]
	v_fma_f64 v[111:112], v[39:40], s[2:3], v[67:68]
	v_fma_f64 v[101:102], v[55:56], s[8:9], v[69:70]
	v_fma_f64 v[103:104], v[53:54], s[10:11], v[91:92]
	v_fma_f64 v[83:84], v[29:30], s[6:7], v[33:34]
	v_fma_f64 v[89:90], v[31:32], s[6:7], v[35:36]
	v_fma_f64 v[117:118], v[45:46], s[6:7], v[79:80]
	v_fma_f64 v[119:120], v[47:48], s[16:17], v[81:82]
	v_fma_f64 v[105:106], v[63:64], s[6:7], v[75:76]
	v_add_f64 v[85:86], v[1:2], -v[5:6]
	v_add_f64 v[87:88], v[3:4], -v[7:8]
	v_fma_f64 v[97:98], v[15:16], s[0:1], v[71:72]
	v_fma_f64 v[99:100], v[13:14], s[2:3], v[73:74]
	;; [unrolled: 1-line block ×3, first 2 shown]
	v_fma_f64 v[73:74], v[17:18], 2.0, -v[113:114]
	v_fma_f64 v[75:76], v[19:20], 2.0, -v[115:116]
	;; [unrolled: 1-line block ×5, first 2 shown]
	v_fma_f64 v[93:94], v[31:32], s[8:9], v[83:84]
	v_fma_f64 v[95:96], v[29:30], s[10:11], v[89:90]
	v_fma_f64 v[89:90], v[23:24], 2.0, -v[109:110]
	v_fma_f64 v[81:82], v[43:44], 2.0, -v[117:118]
	;; [unrolled: 1-line block ×11, first 2 shown]
	s_and_saveexec_b32 s0, vcc_lo
	s_cbranch_execz .LBB0_7
; %bb.6:
	ds_write_b128 v173, v[61:64]
	ds_write_b128 v173, v[65:68] offset:16
	ds_write_b128 v173, v[69:72] offset:32
	;; [unrolled: 1-line block ×15, first 2 shown]
.LBB0_7:
	s_or_b32 exec_lo, exec_lo, s0
	s_clause 0x1
	s_load_dwordx2 s[0:1], s[4:5], 0x20
	s_load_dwordx2 s[2:3], s[4:5], 0x8
	s_waitcnt lgkmcnt(0)
	s_barrier
	buffer_gl0_inv
	s_and_saveexec_b32 s4, vcc_lo
	s_cbranch_execz .LBB0_9
; %bb.8:
	v_or_b32_e32 v1, 0x3800, v170
	ds_read_b128 v[61:64], v170
	ds_read_b128 v[65:68], v170 offset:2048
	ds_read_b128 v[69:72], v170 offset:4096
	;; [unrolled: 1-line block ×9, first 2 shown]
	v_or_b32_e32 v2, 0x7800, v170
	ds_read_b128 v[105:108], v170 offset:22528
	ds_read_b128 v[113:116], v170 offset:24576
	;; [unrolled: 1-line block ×4, first 2 shown]
	ds_read_b128 v[121:124], v1
	ds_read_b128 v[101:104], v2
.LBB0_9:
	s_or_b32 exec_lo, exec_lo, s4
	v_and_b32_e32 v171, 15, v0
	s_mov_b32 s8, 0x667f3bcd
	s_mov_b32 s9, 0xbfe6a09e
	;; [unrolled: 1-line block ×4, first 2 shown]
	v_mad_u64_u32 v[53:54], null, 0xf0, v171, s[2:3]
	s_mov_b32 s4, 0xcf328d46
	s_mov_b32 s6, 0xa6aea964
	;; [unrolled: 1-line block ×6, first 2 shown]
	s_clause 0xe
	global_load_dwordx4 v[1:4], v[53:54], off
	global_load_dwordx4 v[13:16], v[53:54], off offset:16
	global_load_dwordx4 v[9:12], v[53:54], off offset:32
	global_load_dwordx4 v[5:8], v[53:54], off offset:48
	global_load_dwordx4 v[21:24], v[53:54], off offset:64
	global_load_dwordx4 v[45:48], v[53:54], off offset:80
	global_load_dwordx4 v[25:28], v[53:54], off offset:96
	global_load_dwordx4 v[17:20], v[53:54], off offset:112
	global_load_dwordx4 v[29:32], v[53:54], off offset:128
	global_load_dwordx4 v[41:44], v[53:54], off offset:144
	global_load_dwordx4 v[37:40], v[53:54], off offset:160
	global_load_dwordx4 v[33:36], v[53:54], off offset:176
	global_load_dwordx4 v[49:52], v[53:54], off offset:192
	global_load_dwordx4 v[57:60], v[53:54], off offset:208
	global_load_dwordx4 v[53:56], v[53:54], off offset:224
	s_mov_b32 s18, s4
	s_mov_b32 s16, s6
	s_waitcnt vmcnt(0) lgkmcnt(0)
	s_barrier
	buffer_gl0_inv
	v_mul_f64 v[125:126], v[67:68], v[3:4]
	v_mul_f64 v[127:128], v[65:66], v[3:4]
	;; [unrolled: 1-line block ×30, first 2 shown]
	v_fma_f64 v[65:66], v[65:66], v[1:2], -v[125:126]
	v_fma_f64 v[67:68], v[67:68], v[1:2], v[127:128]
	v_fma_f64 v[69:70], v[69:70], v[13:14], -v[129:130]
	v_fma_f64 v[71:72], v[71:72], v[13:14], v[131:132]
	;; [unrolled: 2-line block ×6, first 2 shown]
	v_fma_f64 v[123:124], v[123:124], v[25:26], v[151:152]
	v_fma_f64 v[85:86], v[85:86], v[17:18], -v[153:154]
	v_fma_f64 v[87:88], v[87:88], v[17:18], v[155:156]
	v_fma_f64 v[113:114], v[113:114], v[33:34], -v[182:183]
	;; [unrolled: 2-line block ×5, first 2 shown]
	v_fma_f64 v[95:96], v[95:96], v[29:30], v[159:160]
	v_fma_f64 v[119:120], v[119:120], v[49:50], v[188:189]
	v_fma_f64 v[105:106], v[105:106], v[37:38], -v[178:179]
	v_fma_f64 v[103:104], v[103:104], v[53:54], v[196:197]
	v_fma_f64 v[121:122], v[121:122], v[25:26], -v[149:150]
	v_fma_f64 v[117:118], v[117:118], v[49:50], -v[186:187]
	v_fma_f64 v[107:108], v[107:108], v[37:38], v[180:181]
	v_fma_f64 v[101:102], v[101:102], v[53:54], -v[194:195]
	v_add_f64 v[85:86], v[61:62], -v[85:86]
	v_add_f64 v[87:88], v[63:64], -v[87:88]
	;; [unrolled: 1-line block ×16, first 2 shown]
	v_fma_f64 v[125:126], v[61:62], 2.0, -v[85:86]
	v_fma_f64 v[127:128], v[63:64], 2.0, -v[87:88]
	;; [unrolled: 1-line block ×4, first 2 shown]
	v_add_f64 v[115:116], v[85:86], -v[115:116]
	v_add_f64 v[113:114], v[87:88], v[113:114]
	v_fma_f64 v[73:74], v[89:90], 2.0, -v[109:110]
	v_fma_f64 v[75:76], v[91:92], 2.0, -v[111:112]
	v_add_f64 v[111:112], v[97:98], -v[111:112]
	v_add_f64 v[109:110], v[99:100], v[109:110]
	v_add_f64 v[89:90], v[93:94], -v[119:120]
	v_fma_f64 v[69:70], v[69:70], 2.0, -v[97:98]
	v_add_f64 v[91:92], v[105:106], -v[103:104]
	v_fma_f64 v[71:72], v[71:72], 2.0, -v[99:100]
	v_add_f64 v[129:130], v[95:96], v[117:118]
	v_fma_f64 v[65:66], v[65:66], 2.0, -v[93:94]
	v_add_f64 v[131:132], v[107:108], v[101:102]
	v_fma_f64 v[67:68], v[67:68], 2.0, -v[95:96]
	v_fma_f64 v[81:82], v[81:82], 2.0, -v[117:118]
	;; [unrolled: 1-line block ×7, first 2 shown]
	v_add_f64 v[117:118], v[125:126], -v[61:62]
	v_add_f64 v[119:120], v[127:128], -v[63:64]
	v_fma_f64 v[133:134], v[85:86], 2.0, -v[115:116]
	v_fma_f64 v[135:136], v[87:88], 2.0, -v[113:114]
	;; [unrolled: 1-line block ×5, first 2 shown]
	v_add_f64 v[73:74], v[69:70], -v[73:74]
	v_fma_f64 v[105:106], v[105:106], 2.0, -v[91:92]
	v_add_f64 v[75:76], v[71:72], -v[75:76]
	v_fma_f64 v[95:96], v[95:96], 2.0, -v[129:130]
	v_fma_f64 v[63:64], v[111:112], s[10:11], v[115:116]
	v_fma_f64 v[85:86], v[107:108], 2.0, -v[131:132]
	v_fma_f64 v[87:88], v[109:110], s[10:11], v[113:114]
	v_add_f64 v[107:108], v[65:66], -v[81:82]
	v_add_f64 v[83:84], v[67:68], -v[83:84]
	v_fma_f64 v[121:122], v[91:92], s[10:11], v[89:90]
	v_fma_f64 v[123:124], v[131:132], s[10:11], v[129:130]
	v_add_f64 v[103:104], v[79:80], -v[103:104]
	v_add_f64 v[101:102], v[77:78], -v[101:102]
	v_fma_f64 v[141:142], v[97:98], s[8:9], v[133:134]
	v_fma_f64 v[143:144], v[99:100], s[8:9], v[135:136]
	v_add_f64 v[81:82], v[119:120], v[73:74]
	v_fma_f64 v[137:138], v[105:106], s[8:9], v[93:94]
	v_add_f64 v[61:62], v[117:118], -v[75:76]
	v_fma_f64 v[73:74], v[69:70], 2.0, -v[73:74]
	v_fma_f64 v[63:64], v[109:110], s[8:9], v[63:64]
	v_fma_f64 v[139:140], v[85:86], s[8:9], v[95:96]
	;; [unrolled: 1-line block ×3, first 2 shown]
	v_fma_f64 v[109:110], v[125:126], 2.0, -v[117:118]
	v_fma_f64 v[111:112], v[127:128], 2.0, -v[119:120]
	v_fma_f64 v[131:132], v[131:132], s[8:9], v[121:122]
	v_fma_f64 v[91:92], v[91:92], s[10:11], v[123:124]
	v_add_f64 v[145:146], v[107:108], -v[103:104]
	v_add_f64 v[147:148], v[83:84], v[101:102]
	v_fma_f64 v[123:124], v[71:72], 2.0, -v[75:76]
	v_fma_f64 v[125:126], v[65:66], 2.0, -v[107:108]
	;; [unrolled: 1-line block ×5, first 2 shown]
	v_fma_f64 v[65:66], v[99:100], s[8:9], v[141:142]
	v_fma_f64 v[121:122], v[97:98], s[10:11], v[143:144]
	v_fma_f64 v[75:76], v[119:120], 2.0, -v[81:82]
	v_fma_f64 v[137:138], v[85:86], s[8:9], v[137:138]
	v_fma_f64 v[67:68], v[117:118], 2.0, -v[61:62]
	v_fma_f64 v[69:70], v[115:116], 2.0, -v[63:64]
	v_fma_f64 v[139:140], v[105:106], s[10:11], v[139:140]
	v_fma_f64 v[85:86], v[113:114], 2.0, -v[87:88]
	v_add_f64 v[71:72], v[109:110], -v[73:74]
	v_fma_f64 v[89:90], v[89:90], 2.0, -v[131:132]
	v_fma_f64 v[105:106], v[129:130], 2.0, -v[91:92]
	;; [unrolled: 1-line block ×4, first 2 shown]
	v_add_f64 v[123:124], v[111:112], -v[123:124]
	v_fma_f64 v[101:102], v[131:132], s[18:19], v[63:64]
	v_fma_f64 v[103:104], v[91:92], s[18:19], v[87:88]
	v_add_f64 v[119:120], v[125:126], -v[77:78]
	v_add_f64 v[107:108], v[127:128], -v[79:80]
	v_fma_f64 v[73:74], v[133:134], 2.0, -v[65:66]
	v_fma_f64 v[77:78], v[135:136], 2.0, -v[121:122]
	;; [unrolled: 1-line block ×3, first 2 shown]
	v_fma_f64 v[93:94], v[145:146], s[10:11], v[61:62]
	v_fma_f64 v[149:150], v[137:138], s[16:17], v[65:66]
	v_fma_f64 v[141:142], v[95:96], 2.0, -v[139:140]
	v_fma_f64 v[95:96], v[147:148], s[10:11], v[81:82]
	v_fma_f64 v[143:144], v[139:140], s[16:17], v[121:122]
	v_fma_f64 v[79:80], v[109:110], 2.0, -v[71:72]
	v_fma_f64 v[133:134], v[89:90], s[6:7], v[69:70]
	v_fma_f64 v[135:136], v[105:106], s[6:7], v[85:86]
	;; [unrolled: 1-line block ×4, first 2 shown]
	v_fma_f64 v[83:84], v[111:112], 2.0, -v[123:124]
	v_fma_f64 v[101:102], v[91:92], s[6:7], v[101:102]
	v_fma_f64 v[103:104], v[131:132], s[16:17], v[103:104]
	v_fma_f64 v[125:126], v[125:126], 2.0, -v[119:120]
	v_fma_f64 v[127:128], v[127:128], 2.0, -v[107:108]
	v_add_f64 v[117:118], v[71:72], -v[107:108]
	v_add_f64 v[119:120], v[123:124], v[119:120]
	v_fma_f64 v[151:152], v[129:130], s[4:5], v[73:74]
	v_fma_f64 v[109:110], v[147:148], s[8:9], v[93:94]
	v_fma_f64 v[153:154], v[141:142], s[4:5], v[77:78]
	v_fma_f64 v[111:112], v[145:146], s[10:11], v[95:96]
	v_fma_f64 v[105:106], v[105:106], s[4:5], v[133:134]
	v_fma_f64 v[107:108], v[89:90], s[18:19], v[135:136]
	v_fma_f64 v[97:98], v[97:98], s[8:9], v[113:114]
	v_fma_f64 v[99:100], v[99:100], s[10:11], v[115:116]
	v_fma_f64 v[115:116], v[137:138], s[18:19], v[143:144]
	v_fma_f64 v[113:114], v[139:140], s[4:5], v[149:150]
	v_add_f64 v[93:94], v[79:80], -v[125:126]
	v_add_f64 v[95:96], v[83:84], -v[127:128]
	v_fma_f64 v[89:90], v[141:142], s[6:7], v[151:152]
	v_fma_f64 v[91:92], v[129:130], s[16:17], v[153:154]
	s_and_saveexec_b32 s4, vcc_lo
	s_cbranch_execz .LBB0_11
; %bb.10:
	v_fma_f64 v[141:142], v[83:84], 2.0, -v[95:96]
	v_fma_f64 v[139:140], v[79:80], 2.0, -v[93:94]
	;; [unrolled: 1-line block ×16, first 2 shown]
	v_and_or_b32 v61, 0x700, v170, v171
	v_lshlrev_b32_e32 v61, 4, v61
	ds_write_b128 v61, v[139:142]
	ds_write_b128 v61, v[135:138] offset:256
	ds_write_b128 v61, v[73:76] offset:512
	;; [unrolled: 1-line block ×15, first 2 shown]
.LBB0_11:
	s_or_b32 exec_lo, exec_lo, s4
	v_mad_u64_u32 v[65:66], null, 0x70, v0, s[2:3]
	s_load_dwordx4 s[4:7], s[0:1], 0x0
	s_waitcnt lgkmcnt(0)
	s_barrier
	buffer_gl0_inv
	v_add_co_u32 v73, s0, 0x800, v65
	v_add_co_ci_u32_e64 v74, s0, 0, v66, s0
	v_add_co_u32 v75, s0, 0xf00, v65
	v_add_co_ci_u32_e64 v76, s0, 0, v66, s0
	;; [unrolled: 2-line block ×3, first 2 shown]
	s_clause 0x6
	global_load_dwordx4 v[61:64], v[73:74], off offset:1792
	global_load_dwordx4 v[69:72], v[75:76], off offset:16
	;; [unrolled: 1-line block ×7, first 2 shown]
	ds_read_b128 v[121:124], v170 offset:4096
	ds_read_b128 v[125:128], v170 offset:8192
	;; [unrolled: 1-line block ×7, first 2 shown]
	ds_read_b128 v[149:152], v170
	s_waitcnt vmcnt(5) lgkmcnt(6)
	v_mul_f64 v[157:158], v[127:128], v[71:72]
	v_mul_f64 v[159:160], v[125:126], v[71:72]
	s_waitcnt vmcnt(4) lgkmcnt(5)
	v_mul_f64 v[174:175], v[131:132], v[67:68]
	v_mul_f64 v[176:177], v[129:130], v[67:68]
	;; [unrolled: 1-line block ×4, first 2 shown]
	s_waitcnt vmcnt(3) lgkmcnt(4)
	v_mul_f64 v[178:179], v[135:136], v[87:88]
	v_mul_f64 v[180:181], v[133:134], v[87:88]
	s_waitcnt vmcnt(2) lgkmcnt(3)
	v_mul_f64 v[182:183], v[139:140], v[83:84]
	v_mul_f64 v[184:185], v[137:138], v[83:84]
	;; [unrolled: 3-line block ×4, first 2 shown]
	v_fma_f64 v[125:126], v[125:126], v[69:70], -v[157:158]
	v_fma_f64 v[127:128], v[127:128], v[69:70], v[159:160]
	v_fma_f64 v[129:130], v[129:130], v[65:66], -v[174:175]
	v_fma_f64 v[131:132], v[131:132], v[65:66], v[176:177]
	;; [unrolled: 2-line block ×7, first 2 shown]
	s_waitcnt lgkmcnt(0)
	v_add_f64 v[129:130], v[149:150], -v[129:130]
	v_add_f64 v[131:132], v[151:152], -v[131:132]
	;; [unrolled: 1-line block ×8, first 2 shown]
	v_fma_f64 v[149:150], v[149:150], 2.0, -v[129:130]
	v_fma_f64 v[151:152], v[151:152], 2.0, -v[131:132]
	;; [unrolled: 1-line block ×6, first 2 shown]
	v_add_f64 v[153:154], v[129:130], -v[135:136]
	v_add_f64 v[155:156], v[131:132], v[133:134]
	v_fma_f64 v[133:134], v[141:142], 2.0, -v[145:146]
	v_fma_f64 v[135:136], v[143:144], 2.0, -v[147:148]
	v_add_f64 v[147:148], v[137:138], -v[147:148]
	v_add_f64 v[145:146], v[139:140], v[145:146]
	v_add_f64 v[125:126], v[149:150], -v[125:126]
	v_add_f64 v[127:128], v[151:152], -v[127:128]
	v_fma_f64 v[157:158], v[129:130], 2.0, -v[153:154]
	v_fma_f64 v[159:160], v[131:132], 2.0, -v[155:156]
	v_add_f64 v[129:130], v[121:122], -v[133:134]
	v_add_f64 v[131:132], v[123:124], -v[135:136]
	v_fma_f64 v[135:136], v[137:138], 2.0, -v[147:148]
	v_fma_f64 v[133:134], v[139:140], 2.0, -v[145:146]
	v_fma_f64 v[137:138], v[147:148], s[10:11], v[153:154]
	v_fma_f64 v[139:140], v[145:146], s[10:11], v[155:156]
	v_fma_f64 v[174:175], v[149:150], 2.0, -v[125:126]
	v_fma_f64 v[176:177], v[151:152], 2.0, -v[127:128]
	;; [unrolled: 1-line block ×4, first 2 shown]
	v_fma_f64 v[178:179], v[135:136], s[8:9], v[157:158]
	v_fma_f64 v[180:181], v[133:134], s[8:9], v[159:160]
	v_add_f64 v[141:142], v[125:126], -v[131:132]
	v_add_f64 v[143:144], v[127:128], v[129:130]
	v_fma_f64 v[149:150], v[145:146], s[8:9], v[137:138]
	v_fma_f64 v[151:152], v[147:148], s[10:11], v[139:140]
	v_add_f64 v[145:146], v[174:175], -v[121:122]
	v_add_f64 v[147:148], v[176:177], -v[123:124]
	v_fma_f64 v[133:134], v[133:134], s[8:9], v[178:179]
	v_fma_f64 v[135:136], v[135:136], s[10:11], v[180:181]
	v_fma_f64 v[137:138], v[125:126], 2.0, -v[141:142]
	v_fma_f64 v[139:140], v[127:128], 2.0, -v[143:144]
	;; [unrolled: 1-line block ×4, first 2 shown]
	v_or_b32_e32 v153, 0x100, v0
	v_or_b32_e32 v154, 0x200, v0
	;; [unrolled: 1-line block ×4, first 2 shown]
	v_lshlrev_b32_e32 v179, 4, v153
	v_lshlrev_b32_e32 v178, 4, v154
	v_fma_f64 v[129:130], v[174:175], 2.0, -v[145:146]
	v_fma_f64 v[131:132], v[176:177], 2.0, -v[147:148]
	;; [unrolled: 1-line block ×4, first 2 shown]
	v_or_b32_e32 v157, 0x500, v0
	v_or_b32_e32 v158, 0x600, v0
	;; [unrolled: 1-line block ×3, first 2 shown]
	v_lshlrev_b32_e32 v177, 4, v155
	v_lshlrev_b32_e32 v176, 4, v156
	;; [unrolled: 1-line block ×5, first 2 shown]
	ds_write_b128 v170, v[141:144] offset:24576
	ds_write_b128 v170, v[149:152] offset:28672
	;; [unrolled: 1-line block ×6, first 2 shown]
	ds_write_b128 v170, v[129:132]
	ds_write_b128 v170, v[121:124] offset:4096
	s_waitcnt lgkmcnt(0)
	s_barrier
	buffer_gl0_inv
	s_and_saveexec_b32 s2, vcc_lo
	s_cbranch_execz .LBB0_13
; %bb.12:
	s_add_u32 s0, s14, 0x8000
	s_addc_u32 s1, s15, 0
	s_clause 0x4
	global_load_dwordx4 v[153:156], v170, s[0:1]
	global_load_dwordx4 v[157:160], v179, s[0:1]
	;; [unrolled: 1-line block ×5, first 2 shown]
	ds_read_b128 v[192:195], v170
	ds_read_b128 v[196:199], v170 offset:4096
	ds_read_b128 v[200:203], v170 offset:2048
	;; [unrolled: 1-line block ×4, first 2 shown]
	s_waitcnt vmcnt(4) lgkmcnt(4)
	v_mul_f64 v[212:213], v[194:195], v[155:156]
	v_mul_f64 v[155:156], v[192:193], v[155:156]
	s_waitcnt vmcnt(3) lgkmcnt(3)
	v_mul_f64 v[214:215], v[198:199], v[159:160]
	v_mul_f64 v[159:160], v[196:197], v[159:160]
	;; [unrolled: 3-line block ×3, first 2 shown]
	v_fma_f64 v[192:193], v[192:193], v[153:154], -v[212:213]
	v_fma_f64 v[194:195], v[194:195], v[153:154], v[155:156]
	ds_read_b128 v[153:156], v170 offset:10240
	v_fma_f64 v[196:197], v[196:197], v[157:158], -v[214:215]
	v_fma_f64 v[198:199], v[198:199], v[157:158], v[159:160]
	ds_read_b128 v[157:160], v170 offset:12288
	ds_read_b128 v[212:215], v170 offset:14336
	v_fma_f64 v[208:209], v[208:209], v[180:181], -v[216:217]
	v_fma_f64 v[210:211], v[210:211], v[180:181], v[182:183]
	ds_read_b128 v[180:183], v170 offset:16384
	s_waitcnt vmcnt(1) lgkmcnt(2)
	v_mul_f64 v[218:219], v[159:160], v[186:187]
	v_mul_f64 v[186:187], v[157:158], v[186:187]
	v_fma_f64 v[157:158], v[157:158], v[184:185], -v[218:219]
	v_fma_f64 v[159:160], v[159:160], v[184:185], v[186:187]
	ds_read_b128 v[184:187], v170 offset:18432
	s_waitcnt vmcnt(0) lgkmcnt(1)
	v_mul_f64 v[216:217], v[182:183], v[190:191]
	v_mul_f64 v[190:191], v[180:181], v[190:191]
	v_fma_f64 v[180:181], v[180:181], v[188:189], -v[216:217]
	v_fma_f64 v[182:183], v[182:183], v[188:189], v[190:191]
	s_clause 0x1
	global_load_dwordx4 v[188:191], v175, s[0:1]
	global_load_dwordx4 v[216:219], v174, s[0:1]
	ds_read_b128 v[220:223], v170 offset:20480
	ds_read_b128 v[224:227], v170 offset:22528
	s_waitcnt vmcnt(1) lgkmcnt(1)
	v_mul_f64 v[228:229], v[222:223], v[190:191]
	v_mul_f64 v[190:191], v[220:221], v[190:191]
	v_fma_f64 v[220:221], v[220:221], v[188:189], -v[228:229]
	v_fma_f64 v[222:223], v[222:223], v[188:189], v[190:191]
	ds_read_b128 v[188:191], v170 offset:24576
	ds_read_b128 v[228:231], v170 offset:26624
	s_waitcnt vmcnt(0) lgkmcnt(1)
	v_mul_f64 v[232:233], v[190:191], v[218:219]
	v_mul_f64 v[218:219], v[188:189], v[218:219]
	v_fma_f64 v[188:189], v[188:189], v[216:217], -v[232:233]
	v_fma_f64 v[190:191], v[190:191], v[216:217], v[218:219]
	global_load_dwordx4 v[216:219], v172, s[0:1]
	ds_read_b128 v[232:235], v170 offset:28672
	ds_read_b128 v[236:239], v170 offset:30720
	s_waitcnt vmcnt(0) lgkmcnt(1)
	v_mul_f64 v[240:241], v[234:235], v[218:219]
	v_mul_f64 v[218:219], v[232:233], v[218:219]
	v_fma_f64 v[232:233], v[232:233], v[216:217], -v[240:241]
	v_fma_f64 v[234:235], v[234:235], v[216:217], v[218:219]
	v_or_b32_e32 v216, 0x800, v170
	v_or_b32_e32 v240, 0x1800, v170
	s_clause 0x1
	global_load_dwordx4 v[216:219], v216, s[0:1]
	global_load_dwordx4 v[240:243], v240, s[0:1]
	s_waitcnt vmcnt(1)
	v_mul_f64 v[244:245], v[202:203], v[218:219]
	v_mul_f64 v[218:219], v[200:201], v[218:219]
	v_fma_f64 v[200:201], v[200:201], v[216:217], -v[244:245]
	v_fma_f64 v[202:203], v[202:203], v[216:217], v[218:219]
	s_waitcnt vmcnt(0)
	v_mul_f64 v[216:217], v[206:207], v[242:243]
	v_mul_f64 v[218:219], v[204:205], v[242:243]
	v_fma_f64 v[204:205], v[204:205], v[240:241], -v[216:217]
	v_or_b32_e32 v216, 0x2800, v170
	v_fma_f64 v[206:207], v[206:207], v[240:241], v[218:219]
	v_or_b32_e32 v240, 0x3800, v170
	s_clause 0x1
	global_load_dwordx4 v[216:219], v216, s[0:1]
	global_load_dwordx4 v[240:243], v240, s[0:1]
	s_waitcnt vmcnt(1)
	v_mul_f64 v[244:245], v[155:156], v[218:219]
	v_mul_f64 v[218:219], v[153:154], v[218:219]
	v_fma_f64 v[153:154], v[153:154], v[216:217], -v[244:245]
	v_fma_f64 v[155:156], v[155:156], v[216:217], v[218:219]
	s_waitcnt vmcnt(0)
	v_mul_f64 v[216:217], v[214:215], v[242:243]
	v_mul_f64 v[218:219], v[212:213], v[242:243]
	v_fma_f64 v[212:213], v[212:213], v[240:241], -v[216:217]
	v_or_b32_e32 v216, 0x4800, v170
	v_fma_f64 v[214:215], v[214:215], v[240:241], v[218:219]
	;; [unrolled: 15-line block ×3, first 2 shown]
	v_or_b32_e32 v240, 0x7800, v170
	s_clause 0x1
	global_load_dwordx4 v[224:227], v224, s[0:1]
	global_load_dwordx4 v[240:243], v240, s[0:1]
	s_waitcnt vmcnt(1)
	v_mul_f64 v[244:245], v[230:231], v[226:227]
	v_mul_f64 v[246:247], v[228:229], v[226:227]
	v_fma_f64 v[226:227], v[228:229], v[224:225], -v[244:245]
	v_fma_f64 v[228:229], v[230:231], v[224:225], v[246:247]
	s_waitcnt vmcnt(0) lgkmcnt(0)
	v_mul_f64 v[224:225], v[238:239], v[242:243]
	v_mul_f64 v[230:231], v[236:237], v[242:243]
	v_fma_f64 v[236:237], v[236:237], v[240:241], -v[224:225]
	v_fma_f64 v[238:239], v[238:239], v[240:241], v[230:231]
	ds_write_b128 v170, v[192:195]
	ds_write_b128 v170, v[196:199] offset:4096
	ds_write_b128 v170, v[208:211] offset:8192
	;; [unrolled: 1-line block ×15, first 2 shown]
.LBB0_13:
	s_or_b32 exec_lo, exec_lo, s2
	s_waitcnt lgkmcnt(0)
	s_barrier
	buffer_gl0_inv
	s_and_saveexec_b32 s0, vcc_lo
	s_cbranch_execz .LBB0_15
; %bb.14:
	v_or_b32_e32 v101, 0x3800, v170
	v_or_b32_e32 v102, 0x7800, v170
	ds_read_b128 v[129:132], v170
	ds_read_b128 v[121:124], v170 offset:2048
	ds_read_b128 v[137:140], v170 offset:4096
	;; [unrolled: 1-line block ×13, first 2 shown]
	ds_read_b128 v[149:152], v101
	ds_read_b128 v[101:104], v102
.LBB0_15:
	s_or_b32 exec_lo, exec_lo, s0
	s_waitcnt lgkmcnt(8)
	v_add_f64 v[93:94], v[129:130], -v[93:94]
	v_add_f64 v[95:96], v[131:132], -v[95:96]
	s_waitcnt lgkmcnt(4)
	v_add_f64 v[117:118], v[145:146], -v[117:118]
	v_add_f64 v[119:120], v[147:148], -v[119:120]
	;; [unrolled: 1-line block ×4, first 2 shown]
	s_waitcnt lgkmcnt(2)
	v_add_f64 v[109:110], v[141:142], -v[109:110]
	v_add_f64 v[111:112], v[143:144], -v[111:112]
	v_add_f64 v[89:90], v[121:122], -v[89:90]
	v_add_f64 v[91:92], v[123:124], -v[91:92]
	v_add_f64 v[113:114], v[133:134], -v[113:114]
	v_add_f64 v[115:116], v[135:136], -v[115:116]
	v_add_f64 v[105:106], v[125:126], -v[105:106]
	v_add_f64 v[107:108], v[127:128], -v[107:108]
	s_waitcnt lgkmcnt(0)
	v_add_f64 v[103:104], v[151:152], -v[103:104]
	v_add_f64 v[101:102], v[149:150], -v[101:102]
	s_mov_b32 s0, 0x667f3bcd
	s_mov_b32 s1, 0xbfe6a09e
	;; [unrolled: 1-line block ×6, first 2 shown]
	v_fma_f64 v[129:130], v[129:130], 2.0, -v[93:94]
	v_fma_f64 v[131:132], v[131:132], 2.0, -v[95:96]
	v_fma_f64 v[145:146], v[145:146], 2.0, -v[117:118]
	v_fma_f64 v[147:148], v[147:148], 2.0, -v[119:120]
	v_add_f64 v[119:120], v[93:94], v[119:120]
	v_add_f64 v[117:118], v[95:96], -v[117:118]
	v_fma_f64 v[141:142], v[141:142], 2.0, -v[109:110]
	v_add_f64 v[153:154], v[111:112], v[97:98]
	v_add_f64 v[109:110], v[99:100], -v[109:110]
	v_fma_f64 v[137:138], v[137:138], 2.0, -v[97:98]
	v_add_f64 v[157:158], v[91:92], -v[113:114]
	v_add_f64 v[155:156], v[115:116], v[89:90]
	v_fma_f64 v[139:140], v[139:140], 2.0, -v[99:100]
	v_fma_f64 v[111:112], v[143:144], 2.0, -v[111:112]
	v_add_f64 v[159:160], v[103:104], v[105:106]
	v_add_f64 v[180:181], v[107:108], -v[101:102]
	v_fma_f64 v[121:122], v[121:122], 2.0, -v[89:90]
	v_fma_f64 v[123:124], v[123:124], 2.0, -v[91:92]
	;; [unrolled: 1-line block ×8, first 2 shown]
	v_add_f64 v[133:134], v[129:130], -v[145:146]
	v_add_f64 v[135:136], v[131:132], -v[147:148]
	v_fma_f64 v[93:94], v[93:94], 2.0, -v[119:120]
	v_fma_f64 v[95:96], v[95:96], 2.0, -v[117:118]
	s_mov_b32 s9, 0xbfed906b
	v_fma_f64 v[97:98], v[97:98], 2.0, -v[153:154]
	v_fma_f64 v[99:100], v[99:100], 2.0, -v[109:110]
	v_add_f64 v[141:142], v[137:138], -v[141:142]
	v_fma_f64 v[91:92], v[91:92], 2.0, -v[157:158]
	v_fma_f64 v[89:90], v[89:90], 2.0, -v[155:156]
	v_fma_f64 v[143:144], v[153:154], s[2:3], v[119:120]
	v_add_f64 v[111:112], v[139:140], -v[111:112]
	v_fma_f64 v[105:106], v[105:106], 2.0, -v[159:160]
	v_fma_f64 v[107:108], v[107:108], 2.0, -v[180:181]
	v_fma_f64 v[145:146], v[109:110], s[2:3], v[117:118]
	v_fma_f64 v[147:148], v[159:160], s[2:3], v[155:156]
	v_add_f64 v[113:114], v[121:122], -v[113:114]
	v_add_f64 v[115:116], v[123:124], -v[115:116]
	v_fma_f64 v[149:150], v[180:181], s[2:3], v[157:158]
	s_mov_b32 s11, 0x3fd87de2
	v_add_f64 v[101:102], v[125:126], -v[101:102]
	v_add_f64 v[103:104], v[127:128], -v[103:104]
	v_fma_f64 v[129:130], v[129:130], 2.0, -v[133:134]
	v_fma_f64 v[131:132], v[131:132], 2.0, -v[135:136]
	s_mov_b32 s17, 0xbfd87de2
	s_mov_b32 s16, s10
	;; [unrolled: 1-line block ×3, first 2 shown]
	v_fma_f64 v[151:152], v[97:98], s[0:1], v[93:94]
	v_fma_f64 v[182:183], v[99:100], s[0:1], v[95:96]
	v_fma_f64 v[137:138], v[137:138], 2.0, -v[141:142]
	v_add_f64 v[188:189], v[135:136], -v[141:142]
	v_fma_f64 v[109:110], v[109:110], s[2:3], v[143:144]
	v_fma_f64 v[139:140], v[139:140], 2.0, -v[111:112]
	v_fma_f64 v[184:185], v[105:106], s[0:1], v[89:90]
	v_fma_f64 v[186:187], v[107:108], s[0:1], v[91:92]
	v_add_f64 v[111:112], v[133:134], v[111:112]
	v_fma_f64 v[153:154], v[153:154], s[0:1], v[145:146]
	v_fma_f64 v[121:122], v[121:122], 2.0, -v[113:114]
	v_fma_f64 v[123:124], v[123:124], 2.0, -v[115:116]
	v_fma_f64 v[180:181], v[180:181], s[2:3], v[147:148]
	v_fma_f64 v[141:142], v[159:160], s[0:1], v[149:150]
	v_fma_f64 v[125:126], v[125:126], 2.0, -v[101:102]
	v_fma_f64 v[127:128], v[127:128], 2.0, -v[103:104]
	v_add_f64 v[103:104], v[103:104], v[113:114]
	v_add_f64 v[101:102], v[115:116], -v[101:102]
	s_barrier
	buffer_gl0_inv
	v_fma_f64 v[151:152], v[99:100], s[2:3], v[151:152]
	v_fma_f64 v[159:160], v[97:98], s[0:1], v[182:183]
	;; [unrolled: 1-line block ×4, first 2 shown]
	v_add_f64 v[105:106], v[129:130], -v[137:138]
	v_add_f64 v[107:108], v[131:132], -v[139:140]
	v_fma_f64 v[182:183], v[133:134], 2.0, -v[111:112]
	v_fma_f64 v[184:185], v[135:136], 2.0, -v[188:189]
	;; [unrolled: 1-line block ×4, first 2 shown]
	v_add_f64 v[117:118], v[121:122], -v[125:126]
	v_add_f64 v[119:120], v[123:124], -v[127:128]
	v_fma_f64 v[133:134], v[113:114], 2.0, -v[103:104]
	v_fma_f64 v[135:136], v[115:116], 2.0, -v[101:102]
	;; [unrolled: 1-line block ×4, first 2 shown]
	v_fma_f64 v[113:114], v[103:104], s[2:3], v[111:112]
	v_fma_f64 v[93:94], v[93:94], 2.0, -v[151:152]
	v_fma_f64 v[95:96], v[95:96], 2.0, -v[159:160]
	v_fma_f64 v[115:116], v[101:102], s[2:3], v[188:189]
	v_fma_f64 v[137:138], v[180:181], s[18:19], v[109:110]
	;; [unrolled: 1-line block ×3, first 2 shown]
	v_fma_f64 v[89:90], v[89:90], 2.0, -v[97:98]
	v_fma_f64 v[91:92], v[91:92], 2.0, -v[99:100]
	;; [unrolled: 1-line block ×4, first 2 shown]
	v_fma_f64 v[194:195], v[97:98], s[10:11], v[151:152]
	v_fma_f64 v[196:197], v[99:100], s[10:11], v[159:160]
	v_fma_f64 v[121:122], v[121:122], 2.0, -v[117:118]
	v_fma_f64 v[123:124], v[123:124], 2.0, -v[119:120]
	v_fma_f64 v[129:130], v[133:134], s[0:1], v[182:183]
	v_fma_f64 v[131:132], v[135:136], s[0:1], v[184:185]
	;; [unrolled: 1-line block ×4, first 2 shown]
	v_add_f64 v[125:126], v[105:106], v[119:120]
	v_add_f64 v[127:128], v[107:108], -v[117:118]
	v_fma_f64 v[145:146], v[101:102], s[2:3], v[113:114]
	v_fma_f64 v[147:148], v[103:104], s[0:1], v[115:116]
	;; [unrolled: 1-line block ×6, first 2 shown]
	v_add_f64 v[113:114], v[155:156], -v[121:122]
	v_add_f64 v[115:116], v[157:158], -v[123:124]
	v_fma_f64 v[121:122], v[135:136], s[2:3], v[129:130]
	v_fma_f64 v[123:124], v[133:134], s[0:1], v[131:132]
	;; [unrolled: 1-line block ×6, first 2 shown]
	v_fma_f64 v[97:98], v[105:106], 2.0, -v[125:126]
	v_fma_f64 v[99:100], v[107:108], 2.0, -v[127:128]
	;; [unrolled: 1-line block ×5, first 2 shown]
	v_fma_f64 v[117:118], v[91:92], s[10:11], v[198:199]
	v_fma_f64 v[119:120], v[89:90], s[16:17], v[200:201]
	v_fma_f64 v[109:110], v[151:152], 2.0, -v[141:142]
	v_fma_f64 v[89:90], v[155:156], 2.0, -v[113:114]
	;; [unrolled: 1-line block ×11, first 2 shown]
	s_and_saveexec_b32 s0, vcc_lo
	s_cbranch_execz .LBB0_17
; %bb.16:
	ds_write_b128 v173, v[89:92]
	ds_write_b128 v173, v[93:96] offset:16
	ds_write_b128 v173, v[101:104] offset:32
	;; [unrolled: 1-line block ×15, first 2 shown]
.LBB0_17:
	s_or_b32 exec_lo, exec_lo, s0
	s_waitcnt lgkmcnt(0)
	s_barrier
	buffer_gl0_inv
	s_and_saveexec_b32 s0, vcc_lo
	s_cbranch_execz .LBB0_19
; %bb.18:
	v_or_b32_e32 v137, 0x3800, v170
	v_or_b32_e32 v138, 0x7800, v170
	ds_read_b128 v[89:92], v170
	ds_read_b128 v[93:96], v170 offset:2048
	ds_read_b128 v[101:104], v170 offset:4096
	ds_read_b128 v[105:108], v170 offset:6144
	ds_read_b128 v[97:100], v170 offset:8192
	ds_read_b128 v[109:112], v170 offset:10240
	ds_read_b128 v[129:132], v170 offset:12288
	ds_read_b128 v[113:116], v170 offset:16384
	ds_read_b128 v[117:120], v170 offset:18432
	ds_read_b128 v[121:124], v170 offset:20480
	ds_read_b128 v[133:136], v170 offset:22528
	ds_read_b128 v[125:128], v170 offset:24576
	ds_read_b128 v[141:144], v170 offset:26624
	ds_read_b128 v[145:148], v170 offset:28672
	ds_read_b128 v[149:152], v137
	ds_read_b128 v[137:140], v138
.LBB0_19:
	s_or_b32 exec_lo, exec_lo, s0
	s_waitcnt lgkmcnt(0)
	s_barrier
	buffer_gl0_inv
	s_and_saveexec_b32 s10, vcc_lo
	s_cbranch_execz .LBB0_21
; %bb.20:
	v_mul_f64 v[153:154], v[15:16], v[101:102]
	v_mul_f64 v[157:158], v[47:48], v[131:132]
	;; [unrolled: 1-line block ×22, first 2 shown]
	v_fma_f64 v[103:104], v[13:14], v[103:104], -v[153:154]
	v_fma_f64 v[129:130], v[45:46], v[129:130], v[157:158]
	v_fma_f64 v[145:146], v[57:58], v[145:146], v[159:160]
	v_fma_f64 v[153:154], v[17:18], v[115:116], -v[180:181]
	v_fma_f64 v[45:46], v[45:46], v[131:132], -v[47:48]
	v_mul_f64 v[47:48], v[3:4], v[93:94]
	v_mul_f64 v[131:132], v[31:32], v[117:118]
	;; [unrolled: 1-line block ×8, first 2 shown]
	v_fma_f64 v[123:124], v[41:42], v[123:124], -v[155:156]
	v_fma_f64 v[155:156], v[5:6], v[97:98], v[182:183]
	v_fma_f64 v[157:158], v[33:34], v[125:126], v[184:185]
	v_fma_f64 v[57:58], v[57:58], v[147:148], -v[59:60]
	v_fma_f64 v[13:14], v[13:14], v[101:102], v[15:16]
	v_fma_f64 v[15:16], v[41:42], v[121:122], v[43:44]
	v_fma_f64 v[41:42], v[9:10], v[107:108], -v[186:187]
	v_fma_f64 v[43:44], v[37:38], v[135:136], -v[188:189]
	v_fma_f64 v[59:60], v[25:26], v[149:150], v[190:191]
	v_fma_f64 v[97:98], v[53:54], v[137:138], v[192:193]
	v_fma_f64 v[25:26], v[25:26], v[151:152], -v[27:28]
	;; [unrolled: 4-line block ×5, first 2 shown]
	v_fma_f64 v[7:8], v[33:34], v[127:128], -v[35:36]
	v_fma_f64 v[17:18], v[17:18], v[113:114], v[19:20]
	v_add_f64 v[19:20], v[103:104], -v[123:124]
	v_add_f64 v[29:30], v[129:130], -v[145:146]
	v_add_f64 v[31:32], v[91:92], -v[153:154]
	v_add_f64 v[33:34], v[155:156], -v[157:158]
	v_add_f64 v[35:36], v[45:46], -v[57:58]
	v_add_f64 v[15:16], v[13:14], -v[15:16]
	v_add_f64 v[37:38], v[41:42], -v[43:44]
	v_add_f64 v[39:40], v[59:60], -v[97:98]
	v_add_f64 v[27:28], v[25:26], -v[27:28]
	s_mov_b32 s0, 0x667f3bcd
	v_add_f64 v[11:12], v[9:10], -v[11:12]
	s_mov_b32 s1, 0x3fe6a09e
	v_add_f64 v[43:44], v[47:48], -v[95:96]
	s_mov_b32 s3, 0xbfe6a09e
	v_add_f64 v[49:50], v[101:102], -v[107:108]
	s_mov_b32 s2, s0
	v_add_f64 v[23:24], v[21:22], -v[23:24]
	s_mov_b32 s8, 0xcf328d46
	v_add_f64 v[3:4], v[1:2], -v[3:4]
	s_mov_b32 s9, 0x3fed906b
	v_add_f64 v[7:8], v[5:6], -v[7:8]
	v_add_f64 v[17:18], v[89:90], -v[17:18]
	s_mov_b32 s16, 0xa6aea964
	v_add_f64 v[51:52], v[19:20], -v[29:30]
	v_fma_f64 v[91:92], v[91:92], 2.0, -v[31:32]
	v_add_f64 v[53:54], v[31:32], -v[33:34]
	v_fma_f64 v[33:34], v[155:156], 2.0, -v[33:34]
	v_add_f64 v[55:56], v[35:36], v[15:16]
	v_fma_f64 v[35:36], v[45:46], 2.0, -v[35:36]
	v_add_f64 v[57:58], v[37:38], -v[39:40]
	v_fma_f64 v[29:30], v[129:130], 2.0, -v[29:30]
	v_fma_f64 v[25:26], v[25:26], 2.0, -v[27:28]
	v_add_f64 v[95:96], v[27:28], v[11:12]
	v_fma_f64 v[9:10], v[9:10], 2.0, -v[11:12]
	v_fma_f64 v[47:48], v[47:48], 2.0, -v[43:44]
	s_mov_b32 s17, 0xbfd87de2
	v_add_f64 v[93:94], v[43:44], -v[49:50]
	v_fma_f64 v[45:46], v[101:102], 2.0, -v[49:50]
	v_fma_f64 v[21:22], v[21:22], 2.0, -v[23:24]
	s_mov_b32 s19, 0x3fd87de2
	v_add_f64 v[97:98], v[23:24], v[3:4]
	v_fma_f64 v[1:2], v[1:2], 2.0, -v[3:4]
	v_fma_f64 v[5:6], v[5:6], 2.0, -v[7:8]
	v_add_f64 v[99:100], v[17:18], v[7:8]
	v_fma_f64 v[7:8], v[13:14], 2.0, -v[15:16]
	v_fma_f64 v[13:14], v[59:60], 2.0, -v[39:40]
	;; [unrolled: 1-line block ×9, first 2 shown]
	v_fma_f64 v[41:42], v[51:52], s[0:1], v[53:54]
	v_fma_f64 v[11:12], v[11:12], 2.0, -v[95:96]
	s_mov_b32 s18, s16
	s_mov_b32 s21, 0xbfed906b
	;; [unrolled: 1-line block ×3, first 2 shown]
	v_fma_f64 v[31:32], v[43:44], 2.0, -v[93:94]
	v_add_f64 v[21:22], v[47:48], -v[21:22]
	v_fma_f64 v[3:4], v[3:4], 2.0, -v[97:98]
	v_add_f64 v[43:44], v[1:2], -v[45:46]
	v_add_f64 v[5:6], v[91:92], -v[5:6]
	v_fma_f64 v[17:18], v[17:18], 2.0, -v[99:100]
	v_add_f64 v[29:30], v[7:8], -v[29:30]
	v_add_f64 v[13:14], v[9:10], -v[13:14]
	v_add_f64 v[35:36], v[39:40], -v[35:36]
	v_add_f64 v[33:34], v[49:50], -v[33:34]
	v_fma_f64 v[45:46], v[57:58], s[0:1], v[93:94]
	v_add_f64 v[25:26], v[23:24], -v[25:26]
	v_fma_f64 v[59:60], v[95:96], s[0:1], v[97:98]
	v_fma_f64 v[89:90], v[55:56], s[0:1], v[99:100]
	;; [unrolled: 1-line block ×6, first 2 shown]
	v_fma_f64 v[1:2], v[1:2], 2.0, -v[43:44]
	v_fma_f64 v[55:56], v[91:92], 2.0, -v[5:6]
	v_fma_f64 v[107:108], v[15:16], s[2:3], v[17:18]
	v_fma_f64 v[7:8], v[7:8], 2.0, -v[29:30]
	v_fma_f64 v[9:10], v[9:10], 2.0, -v[13:14]
	;; [unrolled: 1-line block ×4, first 2 shown]
	v_fma_f64 v[45:46], v[95:96], s[2:3], v[45:46]
	v_add_f64 v[91:92], v[5:6], -v[29:30]
	v_fma_f64 v[29:30], v[47:48], 2.0, -v[21:22]
	v_fma_f64 v[23:24], v[23:24], 2.0, -v[25:26]
	v_add_f64 v[13:14], v[21:22], -v[13:14]
	v_fma_f64 v[47:48], v[57:58], s[0:1], v[59:60]
	v_fma_f64 v[51:52], v[51:52], s[0:1], v[89:90]
	v_add_f64 v[25:26], v[25:26], v[43:44]
	v_add_f64 v[57:58], v[33:34], v[35:36]
	v_fma_f64 v[59:60], v[15:16], s[2:3], v[101:102]
	v_fma_f64 v[35:36], v[11:12], s[2:3], v[103:104]
	v_fma_f64 v[53:54], v[53:54], 2.0, -v[41:42]
	v_fma_f64 v[15:16], v[37:38], s[0:1], v[105:106]
	v_fma_f64 v[89:90], v[19:20], s[0:1], v[107:108]
	v_add_f64 v[9:10], v[1:2], -v[9:10]
	v_add_f64 v[37:38], v[55:56], -v[39:40]
	;; [unrolled: 1-line block ×3, first 2 shown]
	v_fma_f64 v[39:40], v[93:94], 2.0, -v[45:46]
	v_fma_f64 v[93:94], v[5:6], 2.0, -v[91:92]
	v_add_f64 v[5:6], v[29:30], -v[23:24]
	v_fma_f64 v[21:22], v[21:22], 2.0, -v[13:14]
	v_fma_f64 v[19:20], v[97:98], 2.0, -v[47:48]
	;; [unrolled: 1-line block ×7, first 2 shown]
	v_fma_f64 v[7:8], v[13:14], s[0:1], v[91:92]
	v_fma_f64 v[27:28], v[25:26], s[0:1], v[57:58]
	;; [unrolled: 1-line block ×3, first 2 shown]
	v_fma_f64 v[31:32], v[3:4], 2.0, -v[15:16]
	v_fma_f64 v[3:4], v[45:46], s[8:9], v[41:42]
	v_fma_f64 v[103:104], v[17:18], 2.0, -v[89:90]
	v_fma_f64 v[17:18], v[47:48], s[8:9], v[51:52]
	v_fma_f64 v[115:116], v[15:16], s[18:19], v[89:90]
	v_fma_f64 v[109:110], v[55:56], 2.0, -v[37:38]
	v_fma_f64 v[49:50], v[49:50], 2.0, -v[95:96]
	;; [unrolled: 1-line block ×3, first 2 shown]
	v_fma_f64 v[105:106], v[39:40], s[16:17], v[53:54]
	v_add_f64 v[11:12], v[37:38], -v[9:10]
	v_fma_f64 v[29:30], v[29:30], 2.0, -v[5:6]
	v_fma_f64 v[107:108], v[21:22], s[2:3], v[93:94]
	v_add_f64 v[9:10], v[95:96], v[5:6]
	v_fma_f64 v[113:114], v[19:20], s[16:17], v[97:98]
	v_fma_f64 v[111:112], v[23:24], s[2:3], v[99:100]
	;; [unrolled: 1-line block ×10, first 2 shown]
	v_add_f64 v[25:26], v[49:50], -v[55:56]
	v_fma_f64 v[19:20], v[19:20], s[20:21], v[105:106]
	v_fma_f64 v[43:44], v[37:38], 2.0, -v[11:12]
	v_add_f64 v[27:28], v[109:110], -v[29:30]
	v_fma_f64 v[23:24], v[23:24], s[2:3], v[107:108]
	v_and_or_b32 v105, 0x700, v170, v171
	v_fma_f64 v[17:18], v[39:40], s[8:9], v[113:114]
	v_fma_f64 v[21:22], v[21:22], s[0:1], v[111:112]
	;; [unrolled: 1-line block ×3, first 2 shown]
	v_fma_f64 v[39:40], v[91:92], 2.0, -v[7:8]
	v_fma_f64 v[37:38], v[57:58], 2.0, -v[5:6]
	;; [unrolled: 1-line block ×5, first 2 shown]
	v_fma_f64 v[29:30], v[33:34], s[18:19], v[119:120]
	v_fma_f64 v[33:34], v[51:52], 2.0, -v[1:2]
	v_fma_f64 v[45:46], v[89:90], 2.0, -v[13:14]
	;; [unrolled: 1-line block ×6, first 2 shown]
	v_lshlrev_b32_e32 v93, 4, v105
	v_fma_f64 v[49:50], v[97:98], 2.0, -v[17:18]
	v_fma_f64 v[53:54], v[99:100], 2.0, -v[21:22]
	;; [unrolled: 1-line block ×4, first 2 shown]
	ds_write_b128 v93, v[9:12] offset:3072
	ds_write_b128 v93, v[5:8] offset:3584
	ds_write_b128 v93, v[41:44] offset:1024
	ds_write_b128 v93, v[37:40] offset:1536
	ds_write_b128 v93, v[33:36] offset:1792
	ds_write_b128 v93, v[25:28] offset:2048
	ds_write_b128 v93, v[21:24] offset:2560
	ds_write_b128 v93, v[17:20] offset:2816
	ds_write_b128 v93, v[13:16] offset:3328
	ds_write_b128 v93, v[57:60]
	ds_write_b128 v93, v[53:56] offset:512
	ds_write_b128 v93, v[49:52] offset:768
	;; [unrolled: 1-line block ×6, first 2 shown]
.LBB0_21:
	s_or_b32 exec_lo, exec_lo, s10
	s_waitcnt lgkmcnt(0)
	s_barrier
	buffer_gl0_inv
	ds_read_b128 v[1:4], v170 offset:4096
	ds_read_b128 v[5:8], v170 offset:8192
	;; [unrolled: 1-line block ×7, first 2 shown]
	ds_read_b128 v[29:32], v170
	s_mov_b32 s0, 0x667f3bcd
	s_mov_b32 s1, 0xbfe6a09e
	;; [unrolled: 1-line block ×4, first 2 shown]
	s_waitcnt lgkmcnt(7)
	v_mul_f64 v[33:34], v[63:64], v[3:4]
	v_mul_f64 v[35:36], v[63:64], v[1:2]
	s_waitcnt lgkmcnt(6)
	v_mul_f64 v[37:38], v[71:72], v[7:8]
	v_mul_f64 v[39:40], v[71:72], v[5:6]
	;; [unrolled: 3-line block ×7, first 2 shown]
	v_fma_f64 v[1:2], v[61:62], v[1:2], v[33:34]
	v_fma_f64 v[3:4], v[61:62], v[3:4], -v[35:36]
	v_fma_f64 v[5:6], v[69:70], v[5:6], v[37:38]
	v_fma_f64 v[7:8], v[69:70], v[7:8], -v[39:40]
	;; [unrolled: 2-line block ×7, first 2 shown]
	s_waitcnt lgkmcnt(0)
	v_add_f64 v[9:10], v[29:30], -v[9:10]
	v_add_f64 v[11:12], v[31:32], -v[11:12]
	;; [unrolled: 1-line block ×8, first 2 shown]
	v_fma_f64 v[29:30], v[29:30], 2.0, -v[9:10]
	v_fma_f64 v[31:32], v[31:32], 2.0, -v[11:12]
	;; [unrolled: 1-line block ×6, first 2 shown]
	v_add_f64 v[33:34], v[9:10], v[15:16]
	v_add_f64 v[35:36], v[11:12], -v[13:14]
	v_fma_f64 v[13:14], v[21:22], 2.0, -v[25:26]
	v_fma_f64 v[15:16], v[23:24], 2.0, -v[27:28]
	v_add_f64 v[21:22], v[17:18], v[27:28]
	v_add_f64 v[23:24], v[19:20], -v[25:26]
	v_add_f64 v[25:26], v[29:30], -v[5:6]
	;; [unrolled: 1-line block ×3, first 2 shown]
	v_fma_f64 v[37:38], v[9:10], 2.0, -v[33:34]
	v_fma_f64 v[39:40], v[11:12], 2.0, -v[35:36]
	v_add_f64 v[5:6], v[1:2], -v[13:14]
	v_add_f64 v[7:8], v[3:4], -v[15:16]
	v_fma_f64 v[15:16], v[17:18], 2.0, -v[21:22]
	v_fma_f64 v[13:14], v[19:20], 2.0, -v[23:24]
	v_fma_f64 v[9:10], v[21:22], s[2:3], v[33:34]
	v_fma_f64 v[11:12], v[23:24], s[2:3], v[35:36]
	v_fma_f64 v[29:30], v[29:30], 2.0, -v[25:26]
	v_fma_f64 v[31:32], v[31:32], 2.0, -v[27:28]
	;; [unrolled: 1-line block ×4, first 2 shown]
	v_fma_f64 v[41:42], v[15:16], s[0:1], v[37:38]
	v_fma_f64 v[43:44], v[13:14], s[0:1], v[39:40]
	v_add_f64 v[1:2], v[25:26], v[7:8]
	v_add_f64 v[3:4], v[27:28], -v[5:6]
	v_fma_f64 v[5:6], v[23:24], s[2:3], v[9:10]
	v_fma_f64 v[7:8], v[21:22], s[0:1], v[11:12]
	v_add_f64 v[9:10], v[29:30], -v[17:18]
	v_add_f64 v[11:12], v[31:32], -v[19:20]
	v_fma_f64 v[13:14], v[13:14], s[2:3], v[41:42]
	v_fma_f64 v[15:16], v[15:16], s[0:1], v[43:44]
	v_fma_f64 v[17:18], v[25:26], 2.0, -v[1:2]
	v_fma_f64 v[19:20], v[27:28], 2.0, -v[3:4]
	;; [unrolled: 1-line block ×8, first 2 shown]
	ds_write_b128 v170, v[1:4] offset:24576
	ds_write_b128 v170, v[5:8] offset:28672
	;; [unrolled: 1-line block ×6, first 2 shown]
	ds_write_b128 v170, v[25:28]
	ds_write_b128 v170, v[29:32] offset:4096
	s_waitcnt lgkmcnt(0)
	s_barrier
	buffer_gl0_inv
	s_and_b32 exec_lo, exec_lo, vcc_lo
	s_cbranch_execz .LBB0_23
; %bb.22:
	v_lshlrev_b32_e32 v33, 4, v162
	v_lshlrev_b32_e32 v37, 4, v163
	;; [unrolled: 1-line block ×3, first 2 shown]
	s_clause 0x5
	global_load_dwordx4 v[1:4], v170, s[14:15]
	global_load_dwordx4 v[5:8], v179, s[14:15]
	;; [unrolled: 1-line block ×6, first 2 shown]
	v_lshlrev_b32_e32 v45, 4, v165
	s_clause 0x1
	global_load_dwordx4 v[33:36], v33, s[14:15]
	global_load_dwordx4 v[37:40], v37, s[14:15]
	v_lshlrev_b32_e32 v49, 4, v166
	s_clause 0x1
	global_load_dwordx4 v[41:44], v41, s[14:15]
	global_load_dwordx4 v[45:48], v45, s[14:15]
	;; [unrolled: 4-line block ×3, first 2 shown]
	v_lshlrev_b32_e32 v57, 4, v168
	v_lshlrev_b32_e32 v61, 4, v169
	s_clause 0x3
	global_load_dwordx4 v[25:28], v174, s[14:15]
	global_load_dwordx4 v[53:56], v53, s[14:15]
	;; [unrolled: 1-line block ×4, first 2 shown]
	ds_read_b128 v[65:68], v170
	ds_read_b128 v[69:72], v170 offset:2048
	v_mad_u64_u32 v[129:130], null, s6, v161, 0
	v_mad_u64_u32 v[131:132], null, s4, v0, 0
	;; [unrolled: 1-line block ×3, first 2 shown]
	ds_read_b128 v[73:76], v170 offset:4096
	ds_read_b128 v[77:80], v170 offset:6144
	v_mad_u64_u32 v[135:136], null, s4, v163, 0
	ds_read_b128 v[81:84], v170 offset:8192
	ds_read_b128 v[85:88], v170 offset:10240
	v_mad_u64_u32 v[137:138], null, s4, v164, 0
	v_mad_u64_u32 v[139:140], null, s4, v165, 0
	ds_read_b128 v[89:92], v170 offset:12288
	ds_read_b128 v[93:96], v170 offset:14336
	v_mad_u64_u32 v[141:142], null, s4, v166, 0
	;; [unrolled: 4-line block ×3, first 2 shown]
	v_mad_u64_u32 v[147:148], null, s4, v169, 0
	v_mad_u64_u32 v[149:150], null, s7, v161, v[130:131]
	ds_read_b128 v[105:108], v170 offset:20480
	ds_read_b128 v[109:112], v170 offset:22528
	v_mad_u64_u32 v[150:151], null, s5, v0, v[132:133]
	v_mad_u64_u32 v[151:152], null, s5, v162, v[134:135]
	ds_read_b128 v[113:116], v170 offset:24576
	ds_read_b128 v[117:120], v170 offset:26624
	;; [unrolled: 4-line block ×3, first 2 shown]
	v_mad_u64_u32 v[154:155], null, s5, v165, v[140:141]
	v_mad_u64_u32 v[155:156], null, s5, v166, v[142:143]
	;; [unrolled: 1-line block ×5, first 2 shown]
	v_mov_b32_e32 v130, v149
	v_mov_b32_e32 v132, v150
	;; [unrolled: 1-line block ×5, first 2 shown]
	v_lshlrev_b64 v[129:130], 4, v[129:130]
	v_lshlrev_b64 v[131:132], 4, v[131:132]
	;; [unrolled: 1-line block ×4, first 2 shown]
	v_mov_b32_e32 v148, v158
	v_lshlrev_b64 v[137:138], 4, v[137:138]
	v_add_co_u32 v191, vcc_lo, s12, v129
	v_add_co_ci_u32_e32 v192, vcc_lo, s13, v130, vcc_lo
	s_lshl_b64 s[0:1], s[4:5], 12
	v_add_co_u32 v131, vcc_lo, v191, v131
	v_add_co_ci_u32_e32 v132, vcc_lo, v192, v132, vcc_lo
	v_add_co_u32 v133, vcc_lo, v191, v133
	v_add_co_ci_u32_e32 v134, vcc_lo, v192, v134, vcc_lo
	v_add_co_u32 v135, vcc_lo, v191, v135
	v_mov_b32_e32 v140, v154
	v_add_co_ci_u32_e32 v136, vcc_lo, v192, v136, vcc_lo
	v_lshlrev_b64 v[129:130], 4, v[147:148]
	v_add_co_u32 v147, vcc_lo, v131, s0
	v_add_co_ci_u32_e32 v148, vcc_lo, s1, v132, vcc_lo
	v_lshlrev_b64 v[139:140], 4, v[139:140]
	v_add_co_u32 v137, vcc_lo, v191, v137
	v_mov_b32_e32 v142, v155
	v_add_co_ci_u32_e32 v138, vcc_lo, v192, v138, vcc_lo
	v_add_co_u32 v149, vcc_lo, v147, s0
	v_add_co_ci_u32_e32 v150, vcc_lo, s1, v148, vcc_lo
	v_lshlrev_b64 v[141:142], 4, v[141:142]
	v_add_co_u32 v139, vcc_lo, v191, v139
	v_mov_b32_e32 v144, v156
	v_add_co_ci_u32_e32 v140, vcc_lo, v192, v140, vcc_lo
	;; [unrolled: 6-line block ×3, first 2 shown]
	v_add_co_u32 v153, vcc_lo, v151, s0
	v_add_co_ci_u32_e32 v154, vcc_lo, s1, v152, vcc_lo
	v_lshlrev_b64 v[145:146], 4, v[145:146]
	v_add_co_u32 v143, vcc_lo, v191, v143
	v_add_co_ci_u32_e32 v144, vcc_lo, v192, v144, vcc_lo
	v_add_co_u32 v155, vcc_lo, v153, s0
	v_add_co_ci_u32_e32 v156, vcc_lo, s1, v154, vcc_lo
	;; [unrolled: 2-line block ×4, first 2 shown]
	s_waitcnt vmcnt(15) lgkmcnt(15)
	v_mul_f64 v[159:160], v[67:68], v[3:4]
	v_mul_f64 v[3:4], v[65:66], v[3:4]
	s_waitcnt vmcnt(14) lgkmcnt(13)
	v_mul_f64 v[161:162], v[75:76], v[7:8]
	v_mul_f64 v[7:8], v[73:74], v[7:8]
	;; [unrolled: 3-line block ×3, first 2 shown]
	s_waitcnt vmcnt(12) lgkmcnt(9)
	v_mul_f64 v[165:166], v[91:92], v[15:16]
	s_waitcnt vmcnt(9)
	v_mul_f64 v[175:176], v[71:72], v[35:36]
	v_mul_f64 v[35:36], v[69:70], v[35:36]
	s_waitcnt vmcnt(8)
	v_mul_f64 v[177:178], v[79:80], v[39:40]
	;; [unrolled: 3-line block ×3, first 2 shown]
	v_mul_f64 v[43:44], v[85:86], v[43:44]
	v_mul_f64 v[15:16], v[89:90], v[15:16]
	s_waitcnt vmcnt(6) lgkmcnt(8)
	v_mul_f64 v[181:182], v[95:96], v[47:48]
	v_mul_f64 v[47:48], v[93:94], v[47:48]
	s_waitcnt lgkmcnt(7)
	v_mul_f64 v[167:168], v[99:100], v[19:20]
	v_mul_f64 v[19:20], v[97:98], v[19:20]
	s_waitcnt vmcnt(4) lgkmcnt(6)
	v_mul_f64 v[183:184], v[103:104], v[51:52]
	v_mul_f64 v[51:52], v[101:102], v[51:52]
	s_waitcnt lgkmcnt(5)
	;; [unrolled: 6-line block ×4, first 2 shown]
	v_mul_f64 v[173:174], v[123:124], v[31:32]
	v_mul_f64 v[31:32], v[121:122], v[31:32]
	s_waitcnt vmcnt(0) lgkmcnt(0)
	v_mul_f64 v[189:190], v[127:128], v[63:64]
	v_mul_f64 v[63:64], v[125:126], v[63:64]
	v_fma_f64 v[65:66], v[65:66], v[1:2], v[159:160]
	v_fma_f64 v[2:3], v[1:2], v[67:68], -v[3:4]
	v_fma_f64 v[69:70], v[69:70], v[33:34], v[175:176]
	v_fma_f64 v[34:35], v[33:34], v[71:72], -v[35:36]
	;; [unrolled: 2-line block ×16, first 2 shown]
	v_ldexp_f64 v[0:1], v[65:66], -11
	v_ldexp_f64 v[2:3], v[2:3], -11
	;; [unrolled: 1-line block ×32, first 2 shown]
	v_add_co_u32 v64, vcc_lo, v191, v129
	v_add_co_ci_u32_e32 v65, vcc_lo, v192, v130, vcc_lo
	v_add_co_u32 v66, vcc_lo, v157, s0
	v_add_co_ci_u32_e32 v67, vcc_lo, s1, v158, vcc_lo
	global_store_dwordx4 v[131:132], v[0:3], off
	global_store_dwordx4 v[133:134], v[32:35], off
	;; [unrolled: 1-line block ×16, first 2 shown]
.LBB0_23:
	s_endpgm
	.section	.rodata,"a",@progbits
	.p2align	6, 0x0
	.amdhsa_kernel bluestein_single_back_len2048_dim1_dp_op_CI_CI
		.amdhsa_group_segment_fixed_size 32768
		.amdhsa_private_segment_fixed_size 0
		.amdhsa_kernarg_size 104
		.amdhsa_user_sgpr_count 6
		.amdhsa_user_sgpr_private_segment_buffer 1
		.amdhsa_user_sgpr_dispatch_ptr 0
		.amdhsa_user_sgpr_queue_ptr 0
		.amdhsa_user_sgpr_kernarg_segment_ptr 1
		.amdhsa_user_sgpr_dispatch_id 0
		.amdhsa_user_sgpr_flat_scratch_init 0
		.amdhsa_user_sgpr_private_segment_size 0
		.amdhsa_wavefront_size32 1
		.amdhsa_uses_dynamic_stack 0
		.amdhsa_system_sgpr_private_segment_wavefront_offset 0
		.amdhsa_system_sgpr_workgroup_id_x 1
		.amdhsa_system_sgpr_workgroup_id_y 0
		.amdhsa_system_sgpr_workgroup_id_z 0
		.amdhsa_system_sgpr_workgroup_info 0
		.amdhsa_system_vgpr_workitem_id 0
		.amdhsa_next_free_vgpr 248
		.amdhsa_next_free_sgpr 22
		.amdhsa_reserve_vcc 1
		.amdhsa_reserve_flat_scratch 0
		.amdhsa_float_round_mode_32 0
		.amdhsa_float_round_mode_16_64 0
		.amdhsa_float_denorm_mode_32 3
		.amdhsa_float_denorm_mode_16_64 3
		.amdhsa_dx10_clamp 1
		.amdhsa_ieee_mode 1
		.amdhsa_fp16_overflow 0
		.amdhsa_workgroup_processor_mode 1
		.amdhsa_memory_ordered 1
		.amdhsa_forward_progress 0
		.amdhsa_shared_vgpr_count 0
		.amdhsa_exception_fp_ieee_invalid_op 0
		.amdhsa_exception_fp_denorm_src 0
		.amdhsa_exception_fp_ieee_div_zero 0
		.amdhsa_exception_fp_ieee_overflow 0
		.amdhsa_exception_fp_ieee_underflow 0
		.amdhsa_exception_fp_ieee_inexact 0
		.amdhsa_exception_int_div_zero 0
	.end_amdhsa_kernel
	.text
.Lfunc_end0:
	.size	bluestein_single_back_len2048_dim1_dp_op_CI_CI, .Lfunc_end0-bluestein_single_back_len2048_dim1_dp_op_CI_CI
                                        ; -- End function
	.section	.AMDGPU.csdata,"",@progbits
; Kernel info:
; codeLenInByte = 14148
; NumSgprs: 24
; NumVgprs: 248
; ScratchSize: 0
; MemoryBound: 0
; FloatMode: 240
; IeeeMode: 1
; LDSByteSize: 32768 bytes/workgroup (compile time only)
; SGPRBlocks: 2
; VGPRBlocks: 30
; NumSGPRsForWavesPerEU: 24
; NumVGPRsForWavesPerEU: 248
; Occupancy: 4
; WaveLimiterHint : 1
; COMPUTE_PGM_RSRC2:SCRATCH_EN: 0
; COMPUTE_PGM_RSRC2:USER_SGPR: 6
; COMPUTE_PGM_RSRC2:TRAP_HANDLER: 0
; COMPUTE_PGM_RSRC2:TGID_X_EN: 1
; COMPUTE_PGM_RSRC2:TGID_Y_EN: 0
; COMPUTE_PGM_RSRC2:TGID_Z_EN: 0
; COMPUTE_PGM_RSRC2:TIDIG_COMP_CNT: 0
	.text
	.p2alignl 6, 3214868480
	.fill 48, 4, 3214868480
	.type	__hip_cuid_968dfbc2d818bf2f,@object ; @__hip_cuid_968dfbc2d818bf2f
	.section	.bss,"aw",@nobits
	.globl	__hip_cuid_968dfbc2d818bf2f
__hip_cuid_968dfbc2d818bf2f:
	.byte	0                               ; 0x0
	.size	__hip_cuid_968dfbc2d818bf2f, 1

	.ident	"AMD clang version 19.0.0git (https://github.com/RadeonOpenCompute/llvm-project roc-6.4.0 25133 c7fe45cf4b819c5991fe208aaa96edf142730f1d)"
	.section	".note.GNU-stack","",@progbits
	.addrsig
	.addrsig_sym __hip_cuid_968dfbc2d818bf2f
	.amdgpu_metadata
---
amdhsa.kernels:
  - .args:
      - .actual_access:  read_only
        .address_space:  global
        .offset:         0
        .size:           8
        .value_kind:     global_buffer
      - .actual_access:  read_only
        .address_space:  global
        .offset:         8
        .size:           8
        .value_kind:     global_buffer
      - .actual_access:  read_only
        .address_space:  global
        .offset:         16
        .size:           8
        .value_kind:     global_buffer
      - .actual_access:  read_only
        .address_space:  global
        .offset:         24
        .size:           8
        .value_kind:     global_buffer
      - .actual_access:  read_only
        .address_space:  global
        .offset:         32
        .size:           8
        .value_kind:     global_buffer
      - .offset:         40
        .size:           8
        .value_kind:     by_value
      - .address_space:  global
        .offset:         48
        .size:           8
        .value_kind:     global_buffer
      - .address_space:  global
        .offset:         56
        .size:           8
        .value_kind:     global_buffer
      - .address_space:  global
        .offset:         64
        .size:           8
        .value_kind:     global_buffer
      - .address_space:  global
        .offset:         72
        .size:           8
        .value_kind:     global_buffer
      - .offset:         80
        .size:           4
        .value_kind:     by_value
      - .address_space:  global
        .offset:         88
        .size:           8
        .value_kind:     global_buffer
      - .address_space:  global
        .offset:         96
        .size:           8
        .value_kind:     global_buffer
    .group_segment_fixed_size: 32768
    .kernarg_segment_align: 8
    .kernarg_segment_size: 104
    .language:       OpenCL C
    .language_version:
      - 2
      - 0
    .max_flat_workgroup_size: 256
    .name:           bluestein_single_back_len2048_dim1_dp_op_CI_CI
    .private_segment_fixed_size: 0
    .sgpr_count:     24
    .sgpr_spill_count: 0
    .symbol:         bluestein_single_back_len2048_dim1_dp_op_CI_CI.kd
    .uniform_work_group_size: 1
    .uses_dynamic_stack: false
    .vgpr_count:     248
    .vgpr_spill_count: 0
    .wavefront_size: 32
    .workgroup_processor_mode: 1
amdhsa.target:   amdgcn-amd-amdhsa--gfx1030
amdhsa.version:
  - 1
  - 2
...

	.end_amdgpu_metadata
